;; amdgpu-corpus repo=ROCm/rocFFT kind=compiled arch=gfx1030 opt=O3
	.text
	.amdgcn_target "amdgcn-amd-amdhsa--gfx1030"
	.amdhsa_code_object_version 6
	.protected	bluestein_single_back_len660_dim1_sp_op_CI_CI ; -- Begin function bluestein_single_back_len660_dim1_sp_op_CI_CI
	.globl	bluestein_single_back_len660_dim1_sp_op_CI_CI
	.p2align	8
	.type	bluestein_single_back_len660_dim1_sp_op_CI_CI,@function
bluestein_single_back_len660_dim1_sp_op_CI_CI: ; @bluestein_single_back_len660_dim1_sp_op_CI_CI
; %bb.0:
	s_load_dwordx4 s[0:3], s[4:5], 0x28
	v_mul_u32_u24_e32 v1, 0x254, v0
	v_mov_b32_e32 v53, 0
	v_lshrrev_b32_e32 v1, 16, v1
	v_add_nc_u32_e32 v52, s6, v1
	s_waitcnt lgkmcnt(0)
	v_cmp_gt_u64_e32 vcc_lo, s[0:1], v[52:53]
	s_and_saveexec_b32 s0, vcc_lo
	s_cbranch_execz .LBB0_23
; %bb.1:
	s_clause 0x1
	s_load_dwordx2 s[14:15], s[4:5], 0x0
	s_load_dwordx2 s[12:13], s[4:5], 0x38
	v_mul_lo_u16 v1, 0x6e, v1
	v_sub_nc_u16 v0, v0, v1
	v_and_b32_e32 v60, 0xffff, v0
	v_cmp_gt_u16_e32 vcc_lo, 60, v0
	v_lshlrev_b32_e32 v59, 3, v60
	s_and_saveexec_b32 s1, vcc_lo
	s_cbranch_execz .LBB0_3
; %bb.2:
	s_load_dwordx2 s[6:7], s[4:5], 0x18
	s_waitcnt lgkmcnt(0)
	v_add_co_u32 v16, s0, s14, v59
	v_add_co_ci_u32_e64 v17, null, s15, 0, s0
	v_add_nc_u32_e32 v46, 0x400, v59
	v_add_nc_u32_e32 v47, 0x800, v59
	;; [unrolled: 1-line block ×3, first 2 shown]
	s_load_dwordx4 s[8:11], s[6:7], 0x0
	s_waitcnt lgkmcnt(0)
	v_mad_u64_u32 v[0:1], null, s10, v52, 0
	v_mad_u64_u32 v[2:3], null, s8, v60, 0
	s_mul_i32 s6, s9, 0x1e0
	s_mul_hi_u32 s7, s8, 0x1e0
	s_add_i32 s7, s7, s6
	v_mad_u64_u32 v[4:5], null, s11, v52, v[1:2]
	v_mad_u64_u32 v[5:6], null, s9, v60, v[3:4]
	v_mov_b32_e32 v1, v4
	v_add_co_u32 v4, s0, 0x800, v16
	s_clause 0x4
	global_load_dwordx2 v[6:7], v59, s[14:15]
	global_load_dwordx2 v[8:9], v59, s[14:15] offset:480
	global_load_dwordx2 v[10:11], v59, s[14:15] offset:960
	;; [unrolled: 1-line block ×4, first 2 shown]
	v_lshlrev_b64 v[0:1], 3, v[0:1]
	v_mov_b32_e32 v3, v5
	v_add_co_ci_u32_e64 v5, s0, 0, v17, s0
	s_clause 0x3
	global_load_dwordx2 v[20:21], v[4:5], off offset:352
	global_load_dwordx2 v[22:23], v[4:5], off offset:832
	;; [unrolled: 1-line block ×4, first 2 shown]
	v_lshlrev_b64 v[2:3], 3, v[2:3]
	v_add_co_u32 v0, s0, s2, v0
	v_add_co_ci_u32_e64 v1, s0, s3, v1, s0
	s_mul_i32 s2, s8, 0x1e0
	v_add_co_u32 v0, s0, v0, v2
	v_add_co_ci_u32_e64 v1, s0, v1, v3, s0
	v_add_co_u32 v2, s0, v0, s2
	v_add_co_ci_u32_e64 v3, s0, s7, v1, s0
	;; [unrolled: 2-line block ×4, first 2 shown]
	s_clause 0x1
	global_load_dwordx2 v[0:1], v[0:1], off
	global_load_dwordx2 v[2:3], v[2:3], off
	v_add_co_u32 v26, s0, v18, s2
	v_add_co_ci_u32_e64 v27, s0, s7, v19, s0
	v_add_co_u32 v28, s0, v26, s2
	v_add_co_ci_u32_e64 v29, s0, s7, v27, s0
	s_clause 0x1
	global_load_dwordx2 v[18:19], v[18:19], off
	global_load_dwordx2 v[26:27], v[26:27], off
	v_add_co_u32 v30, s0, v28, s2
	v_add_co_ci_u32_e64 v31, s0, s7, v29, s0
	global_load_dwordx2 v[28:29], v[28:29], off
	v_add_co_u32 v32, s0, v30, s2
	v_add_co_ci_u32_e64 v33, s0, s7, v31, s0
	;; [unrolled: 3-line block ×6, first 2 shown]
	global_load_dwordx2 v[38:39], v[38:39], off
	s_clause 0x1
	global_load_dwordx2 v[42:43], v[16:17], off offset:224
	global_load_dwordx2 v[16:17], v[16:17], off offset:704
	global_load_dwordx2 v[40:41], v[40:41], off
	s_waitcnt vmcnt(12)
	v_mul_f32_e32 v44, v1, v7
	v_mul_f32_e32 v45, v0, v7
	s_waitcnt vmcnt(11)
	v_mul_f32_e32 v7, v3, v9
	v_mul_f32_e32 v9, v2, v9
	v_fmac_f32_e32 v44, v0, v6
	v_fma_f32 v45, v1, v6, -v45
	v_fmac_f32_e32 v7, v2, v8
	v_fma_f32 v8, v3, v8, -v9
	s_waitcnt vmcnt(10)
	v_mul_f32_e32 v0, v19, v11
	v_mul_f32_e32 v1, v18, v11
	s_waitcnt vmcnt(9)
	v_mul_f32_e32 v2, v27, v13
	v_mul_f32_e32 v3, v26, v13
	ds_write2_b64 v59, v[44:45], v[7:8] offset1:60
	v_fmac_f32_e32 v0, v18, v10
	s_waitcnt vmcnt(8)
	v_mul_f32_e32 v6, v29, v15
	v_mul_f32_e32 v7, v28, v15
	v_fma_f32 v1, v19, v10, -v1
	v_fmac_f32_e32 v2, v26, v12
	v_fma_f32 v3, v27, v12, -v3
	s_waitcnt vmcnt(7)
	v_mul_f32_e32 v8, v31, v21
	v_mul_f32_e32 v9, v30, v21
	v_fmac_f32_e32 v6, v28, v14
	v_fma_f32 v7, v29, v14, -v7
	s_waitcnt vmcnt(6)
	v_mul_f32_e32 v10, v33, v23
	v_mul_f32_e32 v11, v32, v23
	;; [unrolled: 5-line block ×4, first 2 shown]
	v_fmac_f32_e32 v12, v34, v24
	s_waitcnt vmcnt(2)
	v_mul_f32_e32 v18, v39, v43
	v_mul_f32_e32 v19, v38, v43
	s_waitcnt vmcnt(0)
	v_mul_f32_e32 v20, v41, v17
	v_mul_f32_e32 v17, v40, v17
	v_fma_f32 v13, v35, v24, -v13
	v_fmac_f32_e32 v14, v36, v4
	v_fma_f32 v15, v37, v4, -v5
	v_fmac_f32_e32 v18, v38, v42
	;; [unrolled: 2-line block ×3, first 2 shown]
	v_fma_f32 v21, v41, v16, -v17
	ds_write2_b64 v59, v[0:1], v[2:3] offset0:120 offset1:180
	ds_write2_b64 v46, v[6:7], v[8:9] offset0:112 offset1:172
	;; [unrolled: 1-line block ×4, first 2 shown]
	ds_write_b64 v59, v[20:21] offset:4800
.LBB0_3:
	s_or_b32 exec_lo, exec_lo, s1
	s_load_dwordx2 s[0:1], s[4:5], 0x20
	v_mov_b32_e32 v8, 0
	v_mov_b32_e32 v9, 0
	s_waitcnt lgkmcnt(0)
	s_barrier
	buffer_gl0_inv
                                        ; implicit-def: $vgpr4
                                        ; implicit-def: $vgpr0
                                        ; implicit-def: $vgpr20
                                        ; implicit-def: $vgpr14
                                        ; implicit-def: $vgpr18
	s_and_saveexec_b32 s2, vcc_lo
	s_cbranch_execz .LBB0_5
; %bb.4:
	v_add_nc_u32_e32 v0, 0x400, v59
	v_add_nc_u32_e32 v1, 0x800, v59
	;; [unrolled: 1-line block ×3, first 2 shown]
	ds_read2_b64 v[8:11], v59 offset1:60
	ds_read2_b64 v[16:19], v59 offset0:120 offset1:180
	ds_read2_b64 v[12:15], v0 offset0:112 offset1:172
	;; [unrolled: 1-line block ×4, first 2 shown]
	ds_read_b64 v[20:21], v59 offset:4800
.LBB0_5:
	s_or_b32 exec_lo, exec_lo, s2
	s_waitcnt lgkmcnt(0)
	v_sub_f32_e32 v25, v11, v21
	v_sub_f32_e32 v28, v10, v20
	v_add_f32_e32 v47, v20, v10
	v_add_f32_e32 v48, v21, v11
	v_sub_f32_e32 v29, v17, v3
	v_mul_f32_e32 v22, 0xbf0a6770, v25
	v_mul_f32_e32 v23, 0xbf0a6770, v28
	v_sub_f32_e32 v30, v16, v2
	v_add_f32_e32 v43, v2, v16
	v_add_f32_e32 v44, v3, v17
	v_fmamk_f32 v24, v47, 0x3f575c64, v22
	v_fma_f32 v26, 0x3f575c64, v48, -v23
	v_mul_f32_e32 v32, 0xbf68dda4, v29
	v_mul_f32_e32 v33, 0xbf68dda4, v30
	v_sub_f32_e32 v31, v19, v1
	v_add_f32_e32 v24, v24, v8
	v_add_f32_e32 v26, v26, v9
	v_fmamk_f32 v27, v43, 0x3ed4b147, v32
	v_fma_f32 v36, 0x3ed4b147, v44, -v33
	v_add_f32_e32 v49, v0, v18
	v_mul_f32_e32 v34, 0xbf7d64f0, v31
	v_sub_f32_e32 v88, v13, v7
	v_sub_f32_e32 v61, v18, v0
	v_add_f32_e32 v24, v27, v24
	v_add_f32_e32 v26, v36, v26
	v_fmamk_f32 v27, v49, 0xbe11bafb, v34
	v_add_f32_e32 v58, v6, v12
	v_mul_f32_e32 v36, 0xbf4178ce, v88
	v_add_f32_e32 v50, v1, v19
	v_mul_f32_e32 v35, 0xbf7d64f0, v61
	v_sub_f32_e32 v91, v12, v6
	v_add_f32_e32 v24, v27, v24
	v_fmamk_f32 v27, v58, 0xbf27a4f4, v36
	v_mul_f32_e32 v51, 0xbf68dda4, v28
	v_mul_f32_e32 v37, 0xbf68dda4, v25
	v_fma_f32 v39, 0xbe11bafb, v50, -v35
	v_add_f32_e32 v62, v7, v13
	v_mul_f32_e32 v38, 0xbf4178ce, v91
	v_add_f32_e32 v24, v27, v24
	v_fma_f32 v27, 0x3ed4b147, v48, -v51
	v_mul_f32_e32 v56, 0xbf4178ce, v30
	v_add_f32_e32 v26, v39, v26
	v_sub_f32_e32 v96, v15, v5
	v_sub_f32_e32 v97, v14, v4
	v_fma_f32 v41, 0xbf27a4f4, v62, -v38
	v_fmamk_f32 v42, v47, 0x3ed4b147, v37
	v_mul_f32_e32 v45, 0xbf4178ce, v29
	v_add_f32_e32 v27, v27, v9
	v_fma_f32 v54, 0xbf27a4f4, v44, -v56
	v_mul_f32_e32 v55, 0x3e903f40, v61
	v_add_f32_e32 v63, v4, v14
	v_add_f32_e32 v64, v5, v15
	v_mul_f32_e32 v39, 0xbe903f40, v96
	v_mul_f32_e32 v40, 0xbe903f40, v97
	v_add_f32_e32 v26, v41, v26
	v_add_f32_e32 v41, v42, v8
	v_fmamk_f32 v42, v43, 0xbf27a4f4, v45
	v_mul_f32_e32 v46, 0x3e903f40, v31
	v_add_f32_e32 v27, v54, v27
	v_fma_f32 v66, 0xbf75a155, v50, -v55
	v_mul_f32_e32 v57, 0x3f7d64f0, v91
	v_fmamk_f32 v53, v63, 0xbf75a155, v39
	v_fma_f32 v65, 0xbf75a155, v64, -v40
	v_add_f32_e32 v42, v42, v41
	v_fmamk_f32 v54, v49, 0xbf75a155, v46
	v_add_f32_e32 v27, v66, v27
	v_fma_f32 v66, 0xbe11bafb, v62, -v57
	v_mul_f32_e32 v69, 0xbf7d64f0, v25
	v_mul_f32_e32 v41, 0x3f7d64f0, v88
	v_add_f32_e32 v53, v53, v24
	v_add_f32_e32 v24, v54, v42
	v_add_f32_e32 v54, v65, v26
	v_add_f32_e32 v27, v66, v27
	v_fmamk_f32 v26, v47, 0xbe11bafb, v69
	v_mul_f32_e32 v66, 0x3e903f40, v29
	v_mul_f32_e32 v73, 0xbf7d64f0, v28
	v_fmamk_f32 v42, v58, 0xbe11bafb, v41
	v_mul_f32_e32 v70, 0x3f68dda4, v31
	v_add_f32_e32 v26, v26, v8
	v_fmamk_f32 v67, v43, 0xbf75a155, v66
	v_fma_f32 v68, 0xbe11bafb, v48, -v73
	v_mul_f32_e32 v72, 0x3e903f40, v30
	v_add_f32_e32 v24, v42, v24
	v_mul_f32_e32 v42, 0x3f0a6770, v96
	v_add_f32_e32 v26, v67, v26
	v_fmamk_f32 v71, v49, 0x3ed4b147, v70
	v_mul_f32_e32 v67, 0xbf0a6770, v88
	v_add_f32_e32 v77, v68, v9
	v_fma_f32 v78, 0xbf75a155, v44, -v72
	v_mul_f32_e32 v74, 0x3f68dda4, v61
	v_mul_f32_e32 v65, 0x3f0a6770, v97
	v_fmamk_f32 v75, v63, 0x3f575c64, v42
	v_add_f32_e32 v79, v71, v26
	v_fmamk_f32 v80, v58, 0x3f575c64, v67
	v_add_f32_e32 v77, v78, v77
	v_fma_f32 v78, 0x3ed4b147, v50, -v74
	v_mul_f32_e32 v71, 0xbf0a6770, v91
	v_fma_f32 v76, 0x3f575c64, v64, -v65
	v_add_f32_e32 v26, v75, v24
	v_add_f32_e32 v24, v80, v79
	;; [unrolled: 1-line block ×3, first 2 shown]
	v_fma_f32 v79, 0x3f575c64, v62, -v71
	v_mul_f32_e32 v77, 0xbf4178ce, v25
	v_add_f32_e32 v27, v76, v27
	v_mul_f32_e32 v82, 0xbf4178ce, v28
	v_mul_f32_e32 v83, 0x3f7d64f0, v30
	v_add_f32_e32 v98, v79, v78
	v_fmamk_f32 v76, v47, 0xbf27a4f4, v77
	v_mul_f32_e32 v79, 0x3f7d64f0, v29
	v_fma_f32 v78, 0xbf27a4f4, v48, -v82
	v_fma_f32 v86, 0xbe11bafb, v44, -v83
	v_mul_f32_e32 v84, 0xbf0a6770, v61
	v_add_f32_e32 v80, v76, v8
	v_fmamk_f32 v81, v43, 0xbe11bafb, v79
	v_mul_f32_e32 v76, 0xbf0a6770, v31
	v_add_f32_e32 v85, v78, v9
	v_mul_f32_e32 v78, 0xbe903f40, v88
	v_fma_f32 v89, 0x3f575c64, v50, -v84
	v_add_f32_e32 v80, v81, v80
	v_fmamk_f32 v87, v49, 0x3f575c64, v76
	v_add_f32_e32 v85, v86, v85
	v_mul_f32_e32 v81, 0xbe903f40, v91
	v_mul_f32_e32 v86, 0xbe903f40, v25
	;; [unrolled: 1-line block ×3, first 2 shown]
	v_add_f32_e32 v80, v87, v80
	v_fmamk_f32 v87, v58, 0xbf75a155, v78
	v_add_f32_e32 v25, v89, v85
	v_fma_f32 v85, 0xbf75a155, v62, -v81
	v_fmamk_f32 v89, v47, 0xbf75a155, v86
	v_mul_f32_e32 v90, 0xbf4178ce, v31
	v_add_f32_e32 v100, v87, v80
	v_mul_f32_e32 v87, 0x3f0a6770, v29
	v_add_f32_e32 v29, v85, v25
	v_add_f32_e32 v25, v89, v8
	v_fma_f32 v31, 0xbf75a155, v48, -v94
	v_mul_f32_e32 v95, 0x3f0a6770, v30
	v_fmamk_f32 v28, v43, 0x3f575c64, v87
	v_mul_f32_e32 v68, 0xbf4178ce, v96
	v_mul_f32_e32 v93, 0xbf4178ce, v61
	v_add_f32_e32 v30, v31, v9
	v_fma_f32 v31, 0x3f575c64, v44, -v95
	v_add_f32_e32 v25, v28, v25
	v_fmamk_f32 v28, v49, 0xbf27a4f4, v90
	v_fmamk_f32 v75, v63, 0xbf27a4f4, v68
	v_mul_f32_e32 v89, 0x3f68dda4, v88
	v_mul_f32_e32 v92, 0x3f68dda4, v91
	s_load_dwordx2 s[2:3], s[4:5], 0x8
	v_add_f32_e32 v25, v28, v25
	v_add_f32_e32 v28, v31, v30
	v_fma_f32 v30, 0xbf27a4f4, v50, -v93
	v_add_f32_e32 v24, v75, v24
	v_mul_f32_e32 v75, 0xbf4178ce, v97
	v_mul_f32_e32 v80, 0x3f68dda4, v96
	;; [unrolled: 1-line block ×3, first 2 shown]
	v_fmamk_f32 v31, v58, 0x3ed4b147, v89
	v_mul_f32_e32 v88, 0xbf7d64f0, v96
	v_add_f32_e32 v28, v30, v28
	v_fma_f32 v30, 0x3ed4b147, v62, -v92
	v_mul_f32_e32 v91, 0xbf7d64f0, v97
	v_fma_f32 v99, 0xbf27a4f4, v64, -v75
	v_fmamk_f32 v61, v63, 0x3ed4b147, v80
	v_fma_f32 v96, 0x3ed4b147, v64, -v85
	v_add_f32_e32 v97, v31, v25
	v_fmamk_f32 v101, v63, 0xbe11bafb, v88
	v_add_f32_e32 v102, v30, v28
	v_fma_f32 v103, 0xbe11bafb, v64, -v91
	v_add_f32_e32 v25, v99, v98
	v_add_f32_e32 v30, v61, v100
	;; [unrolled: 1-line block ×5, first 2 shown]
	v_mul_lo_u16 v61, v60, 11
	s_waitcnt lgkmcnt(0)
	s_barrier
	buffer_gl0_inv
	s_and_saveexec_b32 s4, vcc_lo
	s_cbranch_execz .LBB0_7
; %bb.6:
	v_mul_f32_e32 v97, 0x3f575c64, v48
	v_mul_f32_e32 v99, 0x3ed4b147, v48
	;; [unrolled: 1-line block ×9, first 2 shown]
	v_add_f32_e32 v48, v94, v48
	v_mul_f32_e32 v94, 0x3f575c64, v44
	v_mul_f32_e32 v47, 0xbf75a155, v47
	;; [unrolled: 1-line block ×4, first 2 shown]
	v_add_f32_e32 v48, v48, v9
	v_add_f32_e32 v94, v95, v94
	v_mul_f32_e32 v106, 0xbf27a4f4, v43
	v_mul_f32_e32 v108, 0xbf75a155, v43
	;; [unrolled: 1-line block ×4, first 2 shown]
	v_add_f32_e32 v48, v94, v48
	v_sub_f32_e32 v47, v47, v86
	v_add_f32_e32 v93, v93, v110
	v_mul_f32_e32 v105, 0x3ed4b147, v44
	v_sub_f32_e32 v43, v43, v87
	v_mul_f32_e32 v107, 0xbf27a4f4, v44
	v_add_f32_e32 v47, v47, v8
	v_add_f32_e32 v48, v93, v48
	v_mul_f32_e32 v93, 0xbf27a4f4, v49
	v_mul_f32_e32 v109, 0xbf75a155, v44
	;; [unrolled: 1-line block ×3, first 2 shown]
	v_add_f32_e32 v43, v43, v47
	v_mul_f32_e32 v110, 0x3ed4b147, v62
	v_sub_f32_e32 v47, v93, v90
	v_mul_f32_e32 v86, 0xbe11bafb, v50
	v_mul_f32_e32 v90, 0x3ed4b147, v50
	v_add_f32_e32 v44, v83, v44
	v_add_f32_e32 v92, v92, v110
	;; [unrolled: 1-line block ×4, first 2 shown]
	v_mul_f32_e32 v110, 0xbf75a155, v50
	v_mul_f32_e32 v50, 0x3f575c64, v50
	v_add_f32_e32 v48, v92, v48
	v_mul_f32_e32 v92, 0x3ed4b147, v58
	v_add_f32_e32 v47, v47, v9
	v_mul_f32_e32 v82, 0xbe11bafb, v64
	v_add_f32_e32 v50, v84, v50
	v_add_f32_e32 v11, v11, v9
	v_add_f32_e32 v10, v10, v8
	;; [unrolled: 1-line block ×3, first 2 shown]
	v_mul_f32_e32 v94, 0xbe11bafb, v49
	v_mul_f32_e32 v87, 0xbf75a155, v49
	;; [unrolled: 1-line block ×4, first 2 shown]
	v_add_f32_e32 v50, v50, v44
	v_sub_f32_e32 v44, v102, v77
	v_sub_f32_e32 v89, v92, v89
	v_mul_f32_e32 v92, 0xbf27a4f4, v62
	v_add_f32_e32 v82, v91, v82
	v_mul_f32_e32 v91, 0xbe11bafb, v62
	v_mul_f32_e32 v84, 0x3f575c64, v62
	v_mul_f32_e32 v62, 0xbf75a155, v62
	v_sub_f32_e32 v79, v95, v79
	v_add_f32_e32 v102, v44, v8
	v_add_f32_e32 v11, v17, v11
	;; [unrolled: 1-line block ×3, first 2 shown]
	v_mul_f32_e32 v93, 0xbf27a4f4, v58
	v_mul_f32_e32 v83, 0xbe11bafb, v58
	v_add_f32_e32 v43, v89, v43
	v_mul_f32_e32 v89, 0x3f575c64, v58
	v_mul_f32_e32 v47, 0xbe11bafb, v63
	;; [unrolled: 1-line block ×4, first 2 shown]
	v_add_f32_e32 v62, v81, v62
	v_mul_f32_e32 v81, 0x3f575c64, v64
	v_add_f32_e32 v73, v73, v101
	v_mul_f32_e32 v101, 0xbf27a4f4, v64
	v_mul_f32_e32 v64, 0x3ed4b147, v64
	v_add_f32_e32 v44, v82, v48
	v_add_f32_e32 v48, v79, v102
	v_sub_f32_e32 v49, v49, v76
	v_add_f32_e32 v11, v19, v11
	v_add_f32_e32 v16, v18, v16
	v_sub_f32_e32 v47, v47, v88
	v_add_f32_e32 v50, v62, v50
	v_add_f32_e32 v62, v85, v64
	;; [unrolled: 1-line block ×3, first 2 shown]
	v_sub_f32_e32 v49, v58, v78
	v_add_f32_e32 v11, v13, v11
	v_add_f32_e32 v12, v12, v16
	;; [unrolled: 1-line block ×5, first 2 shown]
	v_sub_f32_e32 v48, v100, v69
	v_add_f32_e32 v51, v51, v99
	v_sub_f32_e32 v37, v98, v37
	v_add_f32_e32 v23, v23, v97
	;; [unrolled: 2-line block ×3, first 2 shown]
	v_add_f32_e32 v12, v14, v12
	v_mul_f32_e32 v88, 0xbf75a155, v63
	v_mul_f32_e32 v77, 0x3f575c64, v63
	;; [unrolled: 1-line block ×4, first 2 shown]
	v_add_f32_e32 v73, v73, v9
	v_add_f32_e32 v48, v48, v8
	;; [unrolled: 1-line block ×7, first 2 shown]
	v_sub_f32_e32 v16, v104, v32
	v_add_f32_e32 v5, v5, v11
	v_add_f32_e32 v4, v4, v12
	;; [unrolled: 1-line block ×3, first 2 shown]
	v_sub_f32_e32 v62, v63, v80
	v_sub_f32_e32 v63, v108, v66
	v_add_f32_e32 v56, v56, v107
	v_sub_f32_e32 v45, v106, v45
	v_add_f32_e32 v9, v13, v9
	v_add_f32_e32 v13, v35, v86
	;; [unrolled: 1-line block ×3, first 2 shown]
	v_sub_f32_e32 v11, v94, v34
	v_add_f32_e32 v5, v7, v5
	v_add_f32_e32 v4, v6, v4
	;; [unrolled: 1-line block ×5, first 2 shown]
	v_sub_f32_e32 v63, v111, v70
	v_add_f32_e32 v51, v56, v51
	v_add_f32_e32 v55, v55, v110
	v_add_f32_e32 v37, v45, v37
	v_sub_f32_e32 v45, v87, v46
	v_add_f32_e32 v9, v13, v9
	v_add_f32_e32 v12, v38, v92
	v_add_f32_e32 v6, v11, v8
	;; [unrolled: 4-line block ×3, first 2 shown]
	v_add_f32_e32 v58, v71, v84
	v_add_f32_e32 v48, v63, v48
	v_sub_f32_e32 v56, v89, v67
	v_add_f32_e32 v51, v55, v51
	v_add_f32_e32 v55, v57, v91
	v_add_f32_e32 v37, v45, v37
	v_sub_f32_e32 v41, v83, v41
	v_add_f32_e32 v8, v12, v9
	;; [unrolled: 4-line block ×3, first 2 shown]
	v_add_f32_e32 v2, v2, v0
	v_mov_b32_e32 v7, 3
	v_add_f32_e32 v49, v58, v49
	v_add_f32_e32 v58, v75, v101
	;; [unrolled: 1-line block ×3, first 2 shown]
	v_sub_f32_e32 v56, v95, v68
	v_add_f32_e32 v46, v55, v51
	v_add_f32_e32 v51, v65, v81
	;; [unrolled: 1-line block ×3, first 2 shown]
	v_sub_f32_e32 v18, v77, v42
	v_add_f32_e32 v1, v4, v8
	v_add_f32_e32 v0, v6, v5
	;; [unrolled: 1-line block ×4, first 2 shown]
	v_lshlrev_b32_sdwa v4, v7, v61 dst_sel:DWORD dst_unused:UNUSED_PAD src0_sel:DWORD src1_sel:WORD_0
	v_add_f32_e32 v49, v58, v49
	v_add_f32_e32 v48, v56, v48
	;; [unrolled: 1-line block ×5, first 2 shown]
	ds_write2_b64 v4, v[2:3], v[0:1] offset1:1
	ds_write2_b64 v4, v[9:10], v[48:49] offset0:2 offset1:3
	ds_write2_b64 v4, v[46:47], v[43:44] offset0:4 offset1:5
	;; [unrolled: 1-line block ×4, first 2 shown]
	ds_write_b64 v4, v[53:54] offset:80
.LBB0_7:
	s_or_b32 exec_lo, exec_lo, s4
	v_and_b32_e32 v0, 0xff, v60
	s_load_dwordx4 s[4:7], s[0:1], 0x0
	s_waitcnt lgkmcnt(0)
	s_barrier
	buffer_gl0_inv
	v_mul_lo_u16 v0, 0x75, v0
	v_add_nc_u32_e32 v4, 0x400, v59
	v_add_nc_u32_e32 v16, 0xc00, v59
	v_mov_b32_e32 v22, 0x42
	v_cmp_gt_u16_e64 s0, 0x42, v60
	v_lshrrev_b16 v0, 8, v0
	v_sub_nc_u16 v1, v60, v0
	v_lshrrev_b16 v1, 1, v1
	v_and_b32_e32 v1, 0x7f, v1
	v_add_nc_u16 v0, v1, v0
	v_lshrrev_b16 v20, 3, v0
	v_mul_lo_u16 v0, v20, 11
	v_mul_u32_u24_sdwa v20, v20, v22 dst_sel:DWORD dst_unused:UNUSED_PAD src0_sel:WORD_0 src1_sel:DWORD
	v_sub_nc_u16 v0, v60, v0
	v_and_b32_e32 v21, 0xff, v0
	v_mad_u64_u32 v[0:1], null, v21, 40, s[2:3]
	v_add_lshl_u32 v62, v20, v21, 3
	s_clause 0x2
	global_load_dwordx4 v[12:15], v[0:1], off
	global_load_dwordx4 v[8:11], v[0:1], off offset:16
	global_load_dwordx2 v[55:56], v[0:1], off offset:32
	ds_read2_b64 v[0:3], v59 offset1:110
	ds_read2_b64 v[4:7], v4 offset0:92 offset1:202
	ds_read2_b64 v[16:19], v16 offset0:56 offset1:166
	s_waitcnt vmcnt(0) lgkmcnt(0)
	s_barrier
	buffer_gl0_inv
	v_mul_f32_e32 v21, v2, v13
	v_mul_f32_e32 v22, v5, v15
	;; [unrolled: 1-line block ×10, first 2 shown]
	v_fmac_f32_e32 v21, v3, v12
	v_fma_f32 v3, v4, v14, -v22
	v_fmac_f32_e32 v23, v5, v14
	v_fma_f32 v4, v6, v8, -v32
	;; [unrolled: 2-line block ×5, first 2 shown]
	v_add_f32_e32 v16, v3, v5
	v_sub_f32_e32 v17, v23, v35
	v_add_f32_e32 v18, v1, v23
	v_add_f32_e32 v19, v23, v35
	;; [unrolled: 1-line block ×3, first 2 shown]
	v_sub_f32_e32 v23, v33, v37
	v_add_f32_e32 v32, v21, v33
	v_add_f32_e32 v33, v33, v37
	;; [unrolled: 1-line block ×3, first 2 shown]
	v_sub_f32_e32 v3, v3, v5
	v_add_f32_e32 v20, v2, v4
	v_sub_f32_e32 v4, v4, v6
	v_fma_f32 v0, -0.5, v16, v0
	v_fma_f32 v1, -0.5, v19, v1
	v_fmac_f32_e32 v2, -0.5, v22
	v_fmac_f32_e32 v21, -0.5, v33
	v_add_f32_e32 v5, v7, v5
	v_add_f32_e32 v7, v18, v35
	v_fmamk_f32 v18, v17, 0x3f5db3d7, v0
	v_fmac_f32_e32 v0, 0xbf5db3d7, v17
	v_fmamk_f32 v17, v3, 0xbf5db3d7, v1
	v_fmac_f32_e32 v1, 0x3f5db3d7, v3
	v_fmamk_f32 v3, v23, 0x3f5db3d7, v2
	v_fmamk_f32 v19, v4, 0xbf5db3d7, v21
	v_fmac_f32_e32 v2, 0xbf5db3d7, v23
	v_fmac_f32_e32 v21, 0x3f5db3d7, v4
	v_add_f32_e32 v6, v20, v6
	v_mul_f32_e32 v22, 0xbf5db3d7, v3
	v_mul_f32_e32 v4, 0x3f5db3d7, v19
	v_mul_f32_e32 v20, -0.5, v2
	v_mul_f32_e32 v23, -0.5, v21
	v_add_f32_e32 v16, v32, v37
	v_fmac_f32_e32 v22, 0.5, v19
	v_fmac_f32_e32 v4, 0.5, v3
	v_fmac_f32_e32 v20, 0x3f5db3d7, v21
	v_fmac_f32_e32 v23, 0xbf5db3d7, v2
	v_add_f32_e32 v44, v5, v6
	v_add_f32_e32 v45, v7, v16
	v_sub_f32_e32 v34, v5, v6
	v_sub_f32_e32 v35, v7, v16
	v_add_f32_e32 v46, v18, v4
	v_add_f32_e32 v32, v0, v20
	;; [unrolled: 1-line block ×4, first 2 shown]
	v_sub_f32_e32 v36, v18, v4
	v_sub_f32_e32 v38, v0, v20
	;; [unrolled: 1-line block ×4, first 2 shown]
	ds_write2_b64 v62, v[44:45], v[46:47] offset1:11
	ds_write2_b64 v62, v[32:33], v[34:35] offset0:22 offset1:33
	ds_write2_b64 v62, v[36:37], v[38:39] offset0:44 offset1:55
	s_waitcnt lgkmcnt(0)
	s_barrier
	buffer_gl0_inv
	s_and_saveexec_b32 s1, s0
	s_cbranch_execz .LBB0_9
; %bb.8:
	v_add_nc_u32_e32 v0, 0x800, v59
	v_add_nc_u32_e32 v1, 0x1000, v59
	ds_read2_b64 v[44:47], v59 offset1:66
	ds_read2_b64 v[32:35], v59 offset0:132 offset1:198
	ds_read2_b64 v[36:39], v0 offset0:8 offset1:74
	;; [unrolled: 1-line block ×4, first 2 shown]
.LBB0_9:
	s_or_b32 exec_lo, exec_lo, s1
	v_add_nc_u32_e32 v0, 0xffffffbe, v60
	v_cndmask_b32_e64 v0, v0, v60, s0
	v_mul_i32_i24_e32 v1, 0x48, v0
	v_mul_hi_i32_i24_e32 v0, 0x48, v0
	v_add_co_u32 v40, s1, s2, v1
	v_add_co_ci_u32_e64 v41, s1, s3, v0, s1
	s_clause 0x4
	global_load_dwordx4 v[4:7], v[40:41], off offset:440
	global_load_dwordx4 v[0:3], v[40:41], off offset:456
	;; [unrolled: 1-line block ×4, first 2 shown]
	global_load_dwordx2 v[57:58], v[40:41], off offset:504
	s_waitcnt vmcnt(4) lgkmcnt(4)
	v_mul_f32_e32 v40, v47, v5
	v_mul_f32_e32 v41, v46, v5
	s_waitcnt lgkmcnt(3)
	v_mul_f32_e32 v42, v33, v7
	v_mul_f32_e32 v43, v32, v7
	s_waitcnt vmcnt(3)
	v_mul_f32_e32 v48, v35, v1
	v_mul_f32_e32 v49, v34, v1
	s_waitcnt lgkmcnt(2)
	v_mul_f32_e32 v50, v37, v3
	v_mul_f32_e32 v51, v36, v3
	s_waitcnt vmcnt(2)
	;; [unrolled: 6-line block ×4, first 2 shown]
	v_mul_f32_e32 v71, v27, v58
	v_mul_f32_e32 v72, v26, v58
	v_fma_f32 v40, v46, v4, -v40
	v_fmac_f32_e32 v41, v47, v4
	v_fma_f32 v32, v32, v6, -v42
	v_fmac_f32_e32 v43, v33, v6
	;; [unrolled: 2-line block ×9, first 2 shown]
	v_add_f32_e32 v26, v44, v32
	v_add_f32_e32 v27, v34, v28
	v_sub_f32_e32 v36, v32, v34
	v_sub_f32_e32 v37, v24, v28
	;; [unrolled: 1-line block ×4, first 2 shown]
	v_add_f32_e32 v46, v45, v43
	v_add_f32_e32 v47, v51, v66
	v_sub_f32_e32 v50, v43, v51
	v_sub_f32_e32 v63, v70, v66
	v_add_f32_e32 v69, v40, v33
	v_add_f32_e32 v71, v35, v29
	;; [unrolled: 1-line block ×6, first 2 shown]
	v_sub_f32_e32 v30, v43, v70
	v_add_f32_e32 v38, v32, v24
	v_sub_f32_e32 v48, v34, v28
	v_add_f32_e32 v65, v43, v70
	v_sub_f32_e32 v43, v51, v43
	v_sub_f32_e32 v67, v66, v70
	;; [unrolled: 1-line block ×8, first 2 shown]
	v_add_f32_e32 v26, v26, v34
	v_fma_f32 v87, -0.5, v27, v44
	v_add_f32_e32 v27, v36, v37
	v_add_f32_e32 v34, v39, v42
	;; [unrolled: 1-line block ×3, first 2 shown]
	v_fma_f32 v46, -0.5, v47, v45
	v_add_f32_e32 v37, v50, v63
	v_add_f32_e32 v35, v69, v35
	v_fma_f32 v39, -0.5, v71, v40
	v_fmac_f32_e32 v40, -0.5, v77
	v_add_f32_e32 v47, v80, v64
	v_fma_f32 v50, -0.5, v81, v41
	v_fmac_f32_e32 v41, -0.5, v85
	v_sub_f32_e32 v31, v51, v66
	v_sub_f32_e32 v76, v25, v29
	;; [unrolled: 1-line block ×7, first 2 shown]
	v_fmac_f32_e32 v44, -0.5, v38
	v_add_f32_e32 v38, v43, v67
	v_add_f32_e32 v36, v36, v66
	;; [unrolled: 1-line block ×3, first 2 shown]
	v_fmamk_f32 v66, v73, 0x3f737871, v39
	v_fmac_f32_e32 v39, 0xbf737871, v73
	v_fmamk_f32 v67, v74, 0xbf737871, v40
	v_fmac_f32_e32 v40, 0x3f737871, v74
	v_add_f32_e32 v35, v47, v68
	v_fmamk_f32 v47, v33, 0xbf737871, v50
	v_fmac_f32_e32 v50, 0x3f737871, v33
	v_fmamk_f32 v68, v82, 0x3f737871, v41
	v_fmac_f32_e32 v41, 0xbf737871, v82
	v_sub_f32_e32 v32, v32, v24
	v_fmac_f32_e32 v45, -0.5, v65
	v_add_f32_e32 v42, v75, v76
	v_add_f32_e32 v43, v78, v79
	;; [unrolled: 1-line block ×5, first 2 shown]
	v_fmamk_f32 v28, v30, 0x3f737871, v87
	v_fmac_f32_e32 v87, 0xbf737871, v30
	v_fmamk_f32 v63, v31, 0xbf737871, v44
	v_fmac_f32_e32 v44, 0x3f737871, v31
	v_fmac_f32_e32 v66, 0x3f167918, v74
	;; [unrolled: 1-line block ×9, first 2 shown]
	v_fmamk_f32 v64, v32, 0xbf737871, v46
	v_fmac_f32_e32 v46, 0x3f737871, v32
	v_fmamk_f32 v65, v48, 0x3f737871, v45
	v_fmac_f32_e32 v45, 0xbf737871, v48
	v_add_f32_e32 v26, v26, v24
	v_fmac_f32_e32 v28, 0x3f167918, v31
	v_fmac_f32_e32 v87, 0xbf167918, v31
	;; [unrolled: 1-line block ×4, first 2 shown]
	v_add_f32_e32 v30, v36, v70
	v_add_f32_e32 v29, v29, v25
	v_add_f32_e32 v31, v35, v72
	v_fmac_f32_e32 v66, 0x3e9e377a, v42
	v_fmac_f32_e32 v39, 0x3e9e377a, v42
	;; [unrolled: 1-line block ×16, first 2 shown]
	v_add_f32_e32 v24, v26, v29
	v_add_f32_e32 v25, v30, v31
	v_sub_f32_e32 v34, v26, v29
	v_sub_f32_e32 v35, v30, v31
	v_mul_f32_e32 v29, 0x3f167918, v47
	v_mul_f32_e32 v30, 0x3f737871, v68
	;; [unrolled: 1-line block ×8, first 2 shown]
	v_fmac_f32_e32 v64, 0x3e9e377a, v37
	v_fmac_f32_e32 v46, 0x3e9e377a, v37
	;; [unrolled: 1-line block ×6, first 2 shown]
	v_fma_f32 v37, 0x3f737871, v41, -v26
	v_fma_f32 v49, 0x3f167918, v50, -v27
	v_fmac_f32_e32 v31, 0x3f4f1bbd, v47
	v_fmac_f32_e32 v48, 0x3e9e377a, v68
	v_fma_f32 v47, 0xbf737871, v40, -v32
	v_fma_f32 v50, 0xbf167918, v39, -v33
	v_add_f32_e32 v26, v28, v29
	v_add_f32_e32 v40, v63, v30
	;; [unrolled: 1-line block ×8, first 2 shown]
	v_sub_f32_e32 v36, v28, v29
	v_sub_f32_e32 v38, v63, v30
	;; [unrolled: 1-line block ×8, first 2 shown]
	s_and_saveexec_b32 s1, s0
	s_cbranch_execz .LBB0_11
; %bb.10:
	v_add_nc_u32_e32 v44, 0x800, v59
	v_add_nc_u32_e32 v45, 0x1000, v59
	ds_write2_b64 v59, v[24:25], v[26:27] offset1:66
	ds_write2_b64 v59, v[40:41], v[42:43] offset0:132 offset1:198
	ds_write2_b64 v44, v[32:33], v[34:35] offset0:8 offset1:74
	;; [unrolled: 1-line block ×4, first 2 shown]
.LBB0_11:
	s_or_b32 exec_lo, exec_lo, s1
	s_waitcnt lgkmcnt(0)
	s_barrier
	buffer_gl0_inv
	s_and_saveexec_b32 s2, vcc_lo
	s_cbranch_execz .LBB0_13
; %bb.12:
	v_add_co_u32 v50, s1, s14, v59
	v_add_co_ci_u32_e64 v51, null, s15, 0, s1
	v_add_nc_u32_e32 v96, 0x800, v59
	v_add_co_u32 v44, s1, 0x1000, v50
	v_add_co_ci_u32_e64 v45, s1, 0, v51, s1
	v_add_co_u32 v46, s1, 0x14a0, v50
	v_add_co_ci_u32_e64 v47, s1, 0, v51, s1
	global_load_dwordx2 v[44:45], v[44:45], off offset:1184
	v_add_co_u32 v48, s1, 0x1800, v50
	v_add_co_ci_u32_e64 v49, s1, 0, v51, s1
	s_clause 0x3
	global_load_dwordx2 v[75:76], v[46:47], off offset:480
	global_load_dwordx2 v[77:78], v[46:47], off offset:960
	global_load_dwordx2 v[79:80], v[46:47], off offset:1440
	global_load_dwordx2 v[81:82], v[46:47], off offset:1920
	v_add_co_u32 v46, s1, 0x2000, v50
	v_add_co_ci_u32_e64 v47, s1, 0, v51, s1
	s_clause 0x5
	global_load_dwordx2 v[83:84], v[48:49], off offset:1536
	global_load_dwordx2 v[85:86], v[48:49], off offset:2016
	;; [unrolled: 1-line block ×6, first 2 shown]
	ds_read_b64 v[46:47], v59
	v_add_nc_u32_e32 v97, 0x1000, v59
	s_waitcnt vmcnt(10) lgkmcnt(0)
	v_mul_f32_e32 v48, v47, v45
	v_mul_f32_e32 v49, v46, v45
	v_fma_f32 v48, v46, v44, -v48
	v_fmac_f32_e32 v49, v47, v44
	ds_write_b64 v59, v[48:49]
	ds_read2_b64 v[44:47], v59 offset0:60 offset1:120
	ds_read2_b64 v[48:51], v59 offset0:180 offset1:240
	;; [unrolled: 1-line block ×5, first 2 shown]
	s_waitcnt vmcnt(7) lgkmcnt(3)
	v_mul_f32_e32 v100, v49, v80
	v_mul_f32_e32 v98, v45, v76
	;; [unrolled: 1-line block ×6, first 2 shown]
	s_waitcnt vmcnt(6)
	v_mul_f32_e32 v101, v51, v82
	v_mul_f32_e32 v80, v50, v82
	s_waitcnt vmcnt(5) lgkmcnt(2)
	v_mul_f32_e32 v102, v64, v84
	v_mul_f32_e32 v82, v63, v84
	s_waitcnt vmcnt(4)
	v_mul_f32_e32 v103, v66, v86
	v_mul_f32_e32 v84, v65, v86
	s_waitcnt vmcnt(3) lgkmcnt(1)
	v_mul_f32_e32 v104, v68, v88
	v_mul_f32_e32 v86, v67, v88
	;; [unrolled: 6-line block ×3, first 2 shown]
	s_waitcnt vmcnt(0)
	v_mul_f32_e32 v107, v74, v94
	v_mul_f32_e32 v92, v73, v94
	v_fma_f32 v94, v44, v75, -v98
	v_fmac_f32_e32 v95, v45, v75
	v_fma_f32 v75, v46, v77, -v99
	v_fmac_f32_e32 v76, v47, v77
	;; [unrolled: 2-line block ×10, first 2 shown]
	ds_write2_b64 v59, v[94:95], v[75:76] offset0:60 offset1:120
	ds_write2_b64 v59, v[77:78], v[79:80] offset0:180 offset1:240
	;; [unrolled: 1-line block ×5, first 2 shown]
.LBB0_13:
	s_or_b32 exec_lo, exec_lo, s2
	s_waitcnt lgkmcnt(0)
	s_barrier
	buffer_gl0_inv
	s_and_saveexec_b32 s1, vcc_lo
	s_cbranch_execz .LBB0_15
; %bb.14:
	v_add_nc_u32_e32 v28, 0x400, v59
	v_add_nc_u32_e32 v29, 0x800, v59
	;; [unrolled: 1-line block ×3, first 2 shown]
	ds_read2_b64 v[24:27], v59 offset1:60
	ds_read2_b64 v[40:43], v59 offset0:120 offset1:180
	ds_read2_b64 v[32:35], v28 offset0:112 offset1:172
	;; [unrolled: 1-line block ×4, first 2 shown]
	ds_read_b64 v[53:54], v59 offset:4800
.LBB0_15:
	s_or_b32 exec_lo, exec_lo, s1
	s_waitcnt lgkmcnt(0)
	v_sub_f32_e32 v67, v27, v54
	v_add_f32_e32 v71, v54, v27
	v_add_f32_e32 v63, v53, v26
	v_sub_f32_e32 v70, v41, v31
	v_sub_f32_e32 v64, v26, v53
	v_mul_f32_e32 v73, 0xbf68dda4, v67
	v_mul_f32_e32 v77, 0x3ed4b147, v71
	v_mul_f32_e32 v84, 0xbe11bafb, v71
	v_add_f32_e32 v76, v31, v41
	v_add_f32_e32 v65, v30, v40
	v_fma_f32 v44, 0x3ed4b147, v63, -v73
	v_mul_f32_e32 v80, 0xbf4178ce, v70
	v_mul_f32_e32 v81, 0xbf7d64f0, v67
	;; [unrolled: 1-line block ×3, first 2 shown]
	v_fmamk_f32 v45, v64, 0xbf68dda4, v77
	v_fmamk_f32 v47, v64, 0xbf7d64f0, v84
	v_add_f32_e32 v44, v24, v44
	v_mul_f32_e32 v98, 0xbe903f40, v67
	v_sub_f32_e32 v66, v40, v30
	v_mul_f32_e32 v83, 0xbf27a4f4, v76
	v_fma_f32 v68, 0xbf27a4f4, v65, -v80
	v_mul_f32_e32 v94, 0xbf75a155, v76
	v_mul_f32_e32 v93, 0xbf27a4f4, v71
	v_fma_f32 v46, 0xbe11bafb, v63, -v81
	v_fma_f32 v48, 0xbf27a4f4, v63, -v88
	v_add_f32_e32 v45, v25, v45
	v_add_f32_e32 v47, v25, v47
	v_mul_f32_e32 v105, 0xbf75a155, v71
	v_fma_f32 v50, 0xbf75a155, v63, -v98
	v_mul_f32_e32 v87, 0x3e903f40, v70
	v_fmamk_f32 v69, v66, 0xbf4178ce, v83
	v_add_f32_e32 v44, v68, v44
	v_mul_f32_e32 v97, 0x3f7d64f0, v70
	v_fmamk_f32 v68, v66, 0x3e903f40, v94
	v_mul_f32_e32 v107, 0x3f0a6770, v70
	v_fmamk_f32 v49, v64, 0xbf4178ce, v93
	v_add_f32_e32 v46, v24, v46
	v_add_f32_e32 v48, v24, v48
	v_fmamk_f32 v51, v64, 0xbe903f40, v105
	v_add_f32_e32 v50, v24, v50
	v_fma_f32 v72, 0xbf75a155, v65, -v87
	v_add_f32_e32 v45, v69, v45
	v_mul_f32_e32 v102, 0xbe11bafb, v76
	v_fma_f32 v69, 0xbe11bafb, v65, -v97
	v_mul_f32_e32 v111, 0x3f575c64, v76
	v_add_f32_e32 v47, v68, v47
	v_fma_f32 v68, 0x3f575c64, v65, -v107
	v_sub_f32_e32 v75, v43, v29
	v_add_f32_e32 v49, v25, v49
	v_add_f32_e32 v51, v25, v51
	;; [unrolled: 1-line block ×3, first 2 shown]
	v_fmamk_f32 v72, v66, 0x3f7d64f0, v102
	v_add_f32_e32 v48, v69, v48
	v_fmamk_f32 v69, v66, 0x3f0a6770, v111
	v_add_f32_e32 v50, v68, v50
	v_add_f32_e32 v85, v29, v43
	;; [unrolled: 1-line block ×3, first 2 shown]
	v_mul_f32_e32 v86, 0x3e903f40, v75
	v_add_f32_e32 v49, v72, v49
	v_add_f32_e32 v51, v69, v51
	v_sub_f32_e32 v69, v42, v28
	v_mul_f32_e32 v91, 0xbf75a155, v85
	v_fma_f32 v72, 0xbf75a155, v68, -v86
	v_mul_f32_e32 v103, 0xbf0a6770, v75
	v_mul_f32_e32 v110, 0x3f575c64, v85
	v_sub_f32_e32 v82, v33, v39
	v_fmamk_f32 v74, v69, 0x3e903f40, v91
	v_add_f32_e32 v44, v72, v44
	v_fma_f32 v72, 0x3f575c64, v68, -v103
	v_mul_f32_e32 v96, 0x3f68dda4, v75
	v_mul_f32_e32 v99, 0x3ed4b147, v85
	v_add_f32_e32 v45, v74, v45
	v_fmamk_f32 v74, v69, 0xbf0a6770, v110
	v_add_f32_e32 v48, v72, v48
	v_add_f32_e32 v72, v38, v32
	v_mul_f32_e32 v95, 0x3f7d64f0, v82
	v_add_f32_e32 v92, v39, v33
	v_fma_f32 v78, 0x3ed4b147, v68, -v96
	v_fmamk_f32 v79, v69, 0x3f68dda4, v99
	v_mul_f32_e32 v114, 0xbf4178ce, v75
	v_mul_f32_e32 v117, 0xbf27a4f4, v85
	v_add_f32_e32 v49, v74, v49
	v_fma_f32 v89, 0xbe11bafb, v72, -v95
	v_sub_f32_e32 v74, v32, v38
	v_mul_f32_e32 v109, 0x3f575c64, v92
	v_mul_f32_e32 v112, 0xbe903f40, v82
	v_add_f32_e32 v46, v78, v46
	v_add_f32_e32 v47, v79, v47
	v_fma_f32 v78, 0xbf27a4f4, v68, -v114
	v_fmamk_f32 v79, v69, 0xbf4178ce, v117
	v_mul_f32_e32 v100, 0xbe11bafb, v92
	v_add_f32_e32 v44, v89, v44
	v_mul_f32_e32 v104, 0xbf0a6770, v82
	v_mul_f32_e32 v115, 0xbf75a155, v92
	v_fmamk_f32 v89, v74, 0xbf0a6770, v109
	v_fma_f32 v90, 0xbf75a155, v72, -v112
	v_add_f32_e32 v50, v78, v50
	v_add_f32_e32 v51, v79, v51
	v_fmamk_f32 v78, v74, 0x3f7d64f0, v100
	v_fma_f32 v79, 0x3f575c64, v72, -v104
	v_fmamk_f32 v101, v74, 0xbe903f40, v115
	v_add_f32_e32 v123, v89, v47
	v_add_f32_e32 v48, v90, v48
	v_mul_f32_e32 v118, 0x3f68dda4, v82
	v_sub_f32_e32 v89, v35, v37
	v_add_f32_e32 v90, v37, v35
	v_add_f32_e32 v45, v78, v45
	;; [unrolled: 1-line block ×4, first 2 shown]
	v_mul_f32_e32 v120, 0x3ed4b147, v92
	v_add_f32_e32 v78, v36, v34
	v_sub_f32_e32 v79, v34, v36
	v_mul_f32_e32 v101, 0x3f0a6770, v89
	v_mul_f32_e32 v106, 0x3f575c64, v90
	v_fma_f32 v46, 0x3ed4b147, v72, -v118
	v_mul_f32_e32 v108, 0xbf4178ce, v89
	v_fmamk_f32 v47, v74, 0x3f68dda4, v120
	v_fma_f32 v113, 0x3f575c64, v78, -v101
	v_fmamk_f32 v119, v79, 0x3f0a6770, v106
	v_add_f32_e32 v124, v46, v50
	v_fma_f32 v50, 0xbf27a4f4, v78, -v108
	v_add_f32_e32 v125, v47, v51
	v_add_f32_e32 v46, v113, v44
	v_add_f32_e32 v47, v119, v45
	v_mul_f32_e32 v113, 0xbf27a4f4, v90
	v_add_f32_e32 v44, v50, v116
	v_mul_f32_e32 v116, 0x3f68dda4, v89
	v_mul_f32_e32 v119, 0x3ed4b147, v90
	;; [unrolled: 1-line block ×4, first 2 shown]
	v_fmamk_f32 v45, v79, 0xbf4178ce, v113
	v_fma_f32 v50, 0x3ed4b147, v78, -v116
	v_fmamk_f32 v51, v79, 0x3f68dda4, v119
	v_fma_f32 v126, 0xbe11bafb, v78, -v121
	v_fmamk_f32 v127, v79, 0xbf7d64f0, v122
	v_add_f32_e32 v45, v45, v123
	v_add_f32_e32 v50, v50, v48
	;; [unrolled: 1-line block ×5, first 2 shown]
	s_barrier
	buffer_gl0_inv
	s_and_saveexec_b32 s1, vcc_lo
	s_cbranch_execz .LBB0_17
; %bb.16:
	v_mul_f32_e32 v130, 0xbe903f40, v64
	v_mul_f32_e32 v129, 0xbf75a155, v63
	v_mul_f32_e32 v138, 0x3f0a6770, v66
	v_mul_f32_e32 v128, 0xbf4178ce, v64
	v_mul_f32_e32 v137, 0x3f575c64, v65
	v_sub_f32_e32 v105, v105, v130
	v_mul_f32_e32 v146, 0xbf4178ce, v69
	v_sub_f32_e32 v111, v111, v138
	v_add_f32_e32 v98, v129, v98
	v_mul_f32_e32 v136, 0x3f7d64f0, v66
	v_add_f32_e32 v105, v25, v105
	v_mul_f32_e32 v145, 0xbf27a4f4, v68
	v_mul_f32_e32 v153, 0x3f68dda4, v74
	v_add_f32_e32 v98, v24, v98
	v_add_f32_e32 v107, v137, v107
	;; [unrolled: 1-line block ×3, first 2 shown]
	v_sub_f32_e32 v111, v117, v146
	v_sub_f32_e32 v93, v93, v128
	v_mul_f32_e32 v144, 0xbf0a6770, v69
	v_mul_f32_e32 v130, 0x3ed4b147, v72
	v_add_f32_e32 v98, v107, v98
	v_add_f32_e32 v105, v111, v105
	v_sub_f32_e32 v111, v120, v153
	v_mul_f32_e32 v120, 0xbf7d64f0, v79
	v_add_f32_e32 v107, v145, v114
	v_add_f32_e32 v93, v25, v93
	v_sub_f32_e32 v102, v102, v136
	v_mul_f32_e32 v126, 0xbf7d64f0, v64
	v_mul_f32_e32 v152, 0xbe903f40, v74
	;; [unrolled: 1-line block ×3, first 2 shown]
	v_add_f32_e32 v105, v111, v105
	v_sub_f32_e32 v111, v122, v120
	v_add_f32_e32 v107, v107, v98
	v_add_f32_e32 v114, v130, v118
	;; [unrolled: 1-line block ×3, first 2 shown]
	v_sub_f32_e32 v102, v110, v144
	v_mul_f32_e32 v125, 0xbe11bafb, v63
	v_mul_f32_e32 v134, 0x3e903f40, v66
	;; [unrolled: 1-line block ×4, first 2 shown]
	v_add_f32_e32 v98, v111, v105
	v_add_f32_e32 v105, v114, v107
	;; [unrolled: 1-line block ×4, first 2 shown]
	v_sub_f32_e32 v102, v115, v152
	v_sub_f32_e32 v84, v84, v126
	v_mul_f32_e32 v124, 0xbf68dda4, v64
	v_mul_f32_e32 v133, 0xbf75a155, v65
	;; [unrolled: 1-line block ×3, first 2 shown]
	v_add_f32_e32 v110, v135, v97
	v_add_f32_e32 v97, v107, v105
	;; [unrolled: 1-line block ×4, first 2 shown]
	v_sub_f32_e32 v94, v94, v134
	v_sub_f32_e32 v102, v119, v117
	v_add_f32_e32 v105, v125, v81
	v_mul_f32_e32 v132, 0xbf4178ce, v66
	v_mul_f32_e32 v141, 0x3ed4b147, v68
	;; [unrolled: 1-line block ×3, first 2 shown]
	v_add_f32_e32 v84, v94, v84
	v_sub_f32_e32 v94, v99, v142
	v_add_f32_e32 v81, v102, v93
	v_add_f32_e32 v93, v24, v105
	;; [unrolled: 1-line block ×3, first 2 shown]
	v_sub_f32_e32 v77, v77, v124
	v_mul_f32_e32 v123, 0x3ed4b147, v63
	v_mul_f32_e32 v140, 0x3e903f40, v69
	;; [unrolled: 1-line block ×4, first 2 shown]
	v_add_f32_e32 v84, v94, v84
	v_sub_f32_e32 v94, v109, v150
	v_add_f32_e32 v87, v87, v93
	v_add_f32_e32 v93, v141, v96
	v_add_f32_e32 v77, v25, v77
	v_sub_f32_e32 v83, v83, v132
	v_mul_f32_e32 v131, 0xbf27a4f4, v65
	v_mul_f32_e32 v148, 0x3f7d64f0, v74
	v_add_f32_e32 v84, v94, v84
	v_sub_f32_e32 v94, v113, v156
	v_add_f32_e32 v87, v93, v87
	v_add_f32_e32 v93, v149, v104
	;; [unrolled: 1-line block ×4, first 2 shown]
	v_sub_f32_e32 v91, v91, v140
	v_mul_f32_e32 v139, 0xbf75a155, v68
	v_add_f32_e32 v77, v94, v84
	v_add_f32_e32 v84, v93, v87
	;; [unrolled: 1-line block ×5, first 2 shown]
	v_sub_f32_e32 v87, v100, v148
	v_mul_f32_e32 v91, 0x3f575c64, v71
	v_mul_f32_e32 v147, 0xbe11bafb, v72
	;; [unrolled: 1-line block ×4, first 2 shown]
	v_add_f32_e32 v73, v80, v73
	v_add_f32_e32 v80, v139, v86
	;; [unrolled: 1-line block ×3, first 2 shown]
	v_fmamk_f32 v86, v64, 0x3f0a6770, v91
	v_mul_f32_e32 v87, 0x3ed4b147, v76
	v_add_f32_e32 v71, v138, v108
	v_sub_f32_e32 v93, v106, v155
	v_add_f32_e32 v73, v80, v73
	v_add_f32_e32 v80, v147, v95
	;; [unrolled: 1-line block ×3, first 2 shown]
	v_fmamk_f32 v94, v66, 0x3f68dda4, v87
	v_mul_f32_e32 v85, 0xbe11bafb, v85
	v_add_f32_e32 v76, v71, v84
	v_add_f32_e32 v71, v93, v83
	;; [unrolled: 1-line block ×4, first 2 shown]
	v_fmamk_f32 v83, v69, 0x3f7d64f0, v85
	v_mul_f32_e32 v67, 0xbf0a6770, v67
	v_add_f32_e32 v27, v27, v25
	v_add_f32_e32 v26, v26, v24
	v_mul_f32_e32 v70, 0xbf68dda4, v70
	v_add_f32_e32 v80, v83, v80
	v_fmamk_f32 v83, v63, 0x3f575c64, v67
	v_add_f32_e32 v27, v41, v27
	v_add_f32_e32 v26, v40, v26
	v_mul_f32_e32 v75, 0xbf7d64f0, v75
	v_mul_f32_e32 v127, 0xbf27a4f4, v63
	v_add_f32_e32 v41, v24, v83
	v_fmamk_f32 v83, v65, 0x3ed4b147, v70
	v_add_f32_e32 v27, v43, v27
	v_add_f32_e32 v26, v42, v26
	v_fmamk_f32 v43, v68, 0xbe11bafb, v75
	v_add_f32_e32 v88, v127, v88
	v_add_f32_e32 v41, v83, v41
	;; [unrolled: 1-line block ×3, first 2 shown]
	v_mul_f32_e32 v33, 0xbf4178ce, v82
	v_add_f32_e32 v26, v32, v26
	v_fmac_f32_e32 v91, 0xbf0a6770, v64
	v_add_f32_e32 v41, v43, v41
	v_add_f32_e32 v27, v35, v27
	v_fmamk_f32 v32, v72, 0xbf27a4f4, v33
	v_mul_f32_e32 v35, 0xbe903f40, v89
	v_add_f32_e32 v26, v34, v26
	v_mul_f32_e32 v143, 0x3f575c64, v68
	v_add_f32_e32 v37, v37, v27
	v_add_f32_e32 v32, v32, v41
	v_fmamk_f32 v34, v78, 0xbf75a155, v35
	v_add_f32_e32 v36, v36, v26
	v_add_f32_e32 v88, v24, v88
	;; [unrolled: 1-line block ×3, first 2 shown]
	v_mul_f32_e32 v86, 0xbf27a4f4, v92
	v_add_f32_e32 v26, v34, v32
	v_fma_f32 v32, 0x3f575c64, v63, -v67
	v_add_f32_e32 v34, v38, v36
	v_add_f32_e32 v29, v29, v37
	;; [unrolled: 1-line block ×3, first 2 shown]
	v_fmac_f32_e32 v87, 0xbf68dda4, v66
	v_add_f32_e32 v24, v24, v32
	v_fma_f32 v32, 0x3ed4b147, v65, -v70
	v_add_f32_e32 v28, v28, v34
	v_mul_f32_e32 v151, 0xbf75a155, v72
	v_add_f32_e32 v88, v110, v88
	v_add_f32_e32 v103, v143, v103
	v_fmamk_f32 v92, v74, 0x3f4178ce, v86
	v_mul_f32_e32 v42, 0xbf75a155, v90
	v_add_f32_e32 v29, v31, v29
	v_add_f32_e32 v31, v87, v25
	v_fmac_f32_e32 v85, 0xbf7d64f0, v69
	v_add_f32_e32 v24, v32, v24
	v_fma_f32 v32, 0xbe11bafb, v68, -v75
	v_add_f32_e32 v28, v30, v28
	v_mul_f32_e32 v154, 0x3f575c64, v78
	v_mul_f32_e32 v157, 0x3ed4b147, v78
	v_add_f32_e32 v88, v103, v88
	v_add_f32_e32 v103, v151, v112
	;; [unrolled: 1-line block ×3, first 2 shown]
	v_fmamk_f32 v43, v79, 0x3e903f40, v42
	v_add_f32_e32 v25, v54, v29
	v_add_f32_e32 v29, v85, v31
	v_fmac_f32_e32 v86, 0xbf4178ce, v74
	v_add_f32_e32 v30, v32, v24
	v_fma_f32 v31, 0xbf27a4f4, v72, -v33
	v_add_f32_e32 v24, v53, v28
	v_mov_b32_e32 v28, 3
	v_add_f32_e32 v84, v154, v101
	v_add_f32_e32 v88, v103, v88
	;; [unrolled: 1-line block ×5, first 2 shown]
	v_fmac_f32_e32 v42, 0xbe903f40, v79
	v_add_f32_e32 v30, v31, v30
	v_fma_f32 v31, 0xbf75a155, v78, -v35
	v_lshlrev_b32_sdwa v32, v28, v61 dst_sel:DWORD dst_unused:UNUSED_PAD src0_sel:DWORD src1_sel:WORD_0
	v_add_f32_e32 v70, v84, v73
	v_add_f32_e32 v80, v99, v88
	;; [unrolled: 1-line block ×4, first 2 shown]
	ds_write2_b64 v32, v[24:25], v[26:27] offset1:1
	ds_write2_b64 v32, v[70:71], v[76:77] offset0:2 offset1:3
	ds_write2_b64 v32, v[80:81], v[97:98] offset0:4 offset1:5
	;; [unrolled: 1-line block ×4, first 2 shown]
	ds_write_b64 v32, v[28:29] offset:80
.LBB0_17:
	s_or_b32 exec_lo, exec_lo, s1
	s_waitcnt lgkmcnt(0)
	s_barrier
	buffer_gl0_inv
	ds_read2_b64 v[24:27], v59 offset1:110
	v_add_nc_u32_e32 v28, 0x400, v59
	v_add_nc_u32_e32 v32, 0xc00, v59
	ds_read2_b64 v[28:31], v28 offset0:92 offset1:202
	ds_read2_b64 v[32:35], v32 offset0:56 offset1:166
	s_waitcnt lgkmcnt(0)
	s_barrier
	buffer_gl0_inv
	v_mul_f32_e32 v36, v13, v27
	v_mul_f32_e32 v13, v13, v26
	v_fmac_f32_e32 v36, v12, v26
	v_fma_f32 v12, v12, v27, -v13
	v_mul_f32_e32 v26, v9, v31
	v_mul_f32_e32 v9, v9, v30
	;; [unrolled: 1-line block ×8, first 2 shown]
	v_fmac_f32_e32 v26, v8, v30
	v_fma_f32 v8, v8, v31, -v9
	v_fmac_f32_e32 v27, v10, v32
	v_fma_f32 v9, v10, v33, -v11
	v_fma_f32 v10, v55, v35, -v38
	v_fmac_f32_e32 v13, v14, v28
	v_fma_f32 v14, v14, v29, -v15
	v_fmac_f32_e32 v37, v55, v34
	v_add_f32_e32 v31, v12, v8
	v_add_f32_e32 v32, v8, v10
	;; [unrolled: 1-line block ×4, first 2 shown]
	v_sub_f32_e32 v28, v14, v9
	v_add_f32_e32 v29, v25, v14
	v_add_f32_e32 v14, v14, v9
	;; [unrolled: 1-line block ×3, first 2 shown]
	v_sub_f32_e32 v33, v26, v37
	v_fmac_f32_e32 v12, -0.5, v32
	v_sub_f32_e32 v13, v13, v27
	v_fma_f32 v15, -0.5, v15, v24
	v_add_f32_e32 v24, v11, v27
	v_fma_f32 v27, -0.5, v14, v25
	v_add_f32_e32 v25, v29, v9
	v_add_f32_e32 v9, v36, v26
	v_fmac_f32_e32 v36, -0.5, v30
	v_sub_f32_e32 v8, v8, v10
	v_fmamk_f32 v11, v33, 0x3f5db3d7, v12
	v_fmac_f32_e32 v12, 0xbf5db3d7, v33
	v_add_f32_e32 v14, v9, v37
	v_fmamk_f32 v29, v28, 0xbf5db3d7, v15
	v_fmamk_f32 v9, v8, 0xbf5db3d7, v36
	v_fmac_f32_e32 v36, 0x3f5db3d7, v8
	v_mul_f32_e32 v26, 0xbf5db3d7, v11
	v_mul_f32_e32 v30, 0xbf5db3d7, v12
	v_mul_f32_e32 v32, 0.5, v11
	v_mul_f32_e32 v33, -0.5, v12
	v_fmac_f32_e32 v15, 0x3f5db3d7, v28
	v_fmamk_f32 v28, v13, 0x3f5db3d7, v27
	v_fmac_f32_e32 v27, 0xbf5db3d7, v13
	v_add_f32_e32 v31, v31, v10
	v_fmac_f32_e32 v26, 0.5, v9
	v_fmac_f32_e32 v30, -0.5, v36
	v_fmac_f32_e32 v32, 0x3f5db3d7, v9
	v_fmac_f32_e32 v33, 0x3f5db3d7, v36
	v_add_f32_e32 v8, v24, v14
	v_add_f32_e32 v10, v29, v26
	;; [unrolled: 1-line block ×6, first 2 shown]
	v_sub_f32_e32 v14, v24, v14
	v_sub_f32_e32 v24, v29, v26
	;; [unrolled: 1-line block ×6, first 2 shown]
	ds_write2_b64 v62, v[8:9], v[10:11] offset1:11
	ds_write2_b64 v62, v[12:13], v[14:15] offset0:22 offset1:33
	ds_write2_b64 v62, v[24:25], v[26:27] offset0:44 offset1:55
	s_waitcnt lgkmcnt(0)
	s_barrier
	buffer_gl0_inv
	s_and_saveexec_b32 s1, s0
	s_cbranch_execz .LBB0_19
; %bb.18:
	v_add_nc_u32_e32 v28, 0x800, v59
	v_add_nc_u32_e32 v29, 0x1000, v59
	ds_read2_b64 v[8:11], v59 offset1:66
	ds_read2_b64 v[12:15], v59 offset0:132 offset1:198
	ds_read2_b64 v[24:27], v28 offset0:8 offset1:74
	ds_read2_b64 v[48:51], v28 offset0:140 offset1:206
	ds_read2_b64 v[44:47], v29 offset0:16 offset1:82
.LBB0_19:
	s_or_b32 exec_lo, exec_lo, s1
	s_and_saveexec_b32 s1, s0
	s_cbranch_execz .LBB0_21
; %bb.20:
	s_waitcnt lgkmcnt(2)
	v_mul_f32_e32 v28, v3, v24
	s_waitcnt lgkmcnt(1)
	v_mul_f32_e32 v29, v23, v48
	v_mul_f32_e32 v30, v7, v12
	s_waitcnt lgkmcnt(0)
	v_mul_f32_e32 v31, v19, v44
	v_mul_f32_e32 v32, v7, v13
	v_fma_f32 v28, v2, v25, -v28
	v_fma_f32 v29, v22, v49, -v29
	v_mul_f32_e32 v25, v3, v25
	v_mul_f32_e32 v19, v19, v45
	v_fma_f32 v7, v6, v13, -v30
	v_mul_f32_e32 v23, v23, v49
	v_add_f32_e32 v30, v29, v28
	v_fmac_f32_e32 v25, v2, v24
	v_mul_f32_e32 v24, v5, v11
	v_fma_f32 v13, v18, v45, -v31
	v_fmac_f32_e32 v19, v18, v44
	v_fma_f32 v18, -0.5, v30, v9
	v_mul_f32_e32 v30, v1, v15
	v_mul_f32_e32 v31, v21, v27
	v_fmac_f32_e32 v23, v22, v48
	v_mul_f32_e32 v22, v17, v51
	v_mul_f32_e32 v21, v21, v26
	;; [unrolled: 1-line block ×4, first 2 shown]
	v_fmac_f32_e32 v24, v4, v10
	v_mul_f32_e32 v1, v1, v14
	v_mul_f32_e32 v10, v58, v46
	v_fmac_f32_e32 v32, v6, v12
	v_mul_f32_e32 v2, v58, v47
	v_fmac_f32_e32 v30, v0, v14
	v_fmac_f32_e32 v31, v20, v26
	;; [unrolled: 1-line block ×3, first 2 shown]
	v_fma_f32 v20, v20, v27, -v21
	v_fma_f32 v16, v16, v51, -v17
	;; [unrolled: 1-line block ×4, first 2 shown]
	v_sub_f32_e32 v3, v32, v19
	v_fmac_f32_e32 v2, v57, v46
	v_sub_f32_e32 v6, v7, v28
	v_sub_f32_e32 v17, v0, v20
	;; [unrolled: 1-line block ×4, first 2 shown]
	v_fma_f32 v4, v4, v11, -v5
	v_sub_f32_e32 v36, v25, v23
	v_add_f32_e32 v40, v2, v30
	v_add_f32_e32 v17, v21, v17
	v_fmamk_f32 v21, v3, 0xbf737871, v18
	v_fmac_f32_e32 v18, 0x3f737871, v3
	v_add_f32_e32 v5, v16, v20
	v_add_f32_e32 v11, v22, v31
	v_sub_f32_e32 v15, v0, v10
	v_sub_f32_e32 v35, v20, v16
	v_add_f32_e32 v6, v12, v6
	v_fmac_f32_e32 v21, 0xbf167918, v36
	v_add_f32_e32 v37, v13, v7
	v_add_f32_e32 v38, v10, v0
	v_fma_f32 v40, -0.5, v40, v24
	v_sub_f32_e32 v43, v20, v0
	v_fmac_f32_e32 v18, 0x3f167918, v36
	v_add_f32_e32 v0, v0, v4
	v_fma_f32 v14, -0.5, v5, v4
	v_sub_f32_e32 v5, v30, v2
	v_fma_f32 v11, -0.5, v11, v24
	v_fmac_f32_e32 v21, 0x3e9e377a, v6
	v_sub_f32_e32 v39, v28, v7
	v_fma_f32 v37, -0.5, v37, v9
	v_fma_f32 v38, -0.5, v38, v4
	v_fmamk_f32 v47, v35, 0xbf737871, v40
	v_fmac_f32_e32 v40, 0x3f737871, v35
	v_fmac_f32_e32 v18, 0x3e9e377a, v6
	v_add_f32_e32 v6, v7, v9
	v_sub_f32_e32 v4, v7, v13
	v_add_f32_e32 v0, v20, v0
	v_sub_f32_e32 v7, v32, v25
	v_sub_f32_e32 v9, v19, v23
	;; [unrolled: 1-line block ×4, first 2 shown]
	v_fmamk_f32 v26, v5, 0xbf737871, v14
	v_sub_f32_e32 v33, v2, v22
	v_fmamk_f32 v34, v15, 0x3f737871, v11
	v_sub_f32_e32 v44, v16, v10
	v_fmac_f32_e32 v47, 0x3f167918, v15
	v_fmac_f32_e32 v40, 0xbf167918, v15
	;; [unrolled: 1-line block ×4, first 2 shown]
	v_add_f32_e32 v15, v23, v25
	v_add_f32_e32 v0, v16, v0
	;; [unrolled: 1-line block ×4, first 2 shown]
	v_fmamk_f32 v45, v27, 0x3f737871, v38
	v_fmac_f32_e32 v38, 0xbf737871, v27
	v_add_f32_e32 v6, v28, v6
	v_fmac_f32_e32 v26, 0xbf167918, v27
	v_add_f32_e32 v33, v33, v1
	v_fmac_f32_e32 v34, 0x3f167918, v35
	v_fmac_f32_e32 v14, 0x3f167918, v27
	;; [unrolled: 1-line block ×3, first 2 shown]
	v_fma_f32 v27, -0.5, v15, v8
	v_sub_f32_e32 v15, v28, v29
	v_fma_f32 v28, -0.5, v7, v8
	v_add_f32_e32 v8, v32, v8
	v_add_f32_e32 v24, v30, v24
	v_sub_f32_e32 v42, v31, v30
	v_sub_f32_e32 v46, v22, v2
	v_add_f32_e32 v43, v44, v43
	v_fmac_f32_e32 v45, 0xbf167918, v5
	v_fmac_f32_e32 v38, 0x3f167918, v5
	v_add_f32_e32 v6, v29, v6
	v_fmac_f32_e32 v34, 0x3e9e377a, v33
	v_fmac_f32_e32 v14, 0x3e9e377a, v17
	;; [unrolled: 1-line block ×3, first 2 shown]
	v_fmamk_f32 v20, v4, 0x3f737871, v27
	v_fmamk_f32 v33, v15, 0xbf737871, v28
	v_fmac_f32_e32 v28, 0x3f737871, v15
	v_add_f32_e32 v8, v25, v8
	v_add_f32_e32 v24, v31, v24
	v_fmac_f32_e32 v27, 0xbf737871, v4
	v_fmac_f32_e32 v26, 0x3e9e377a, v17
	v_sub_f32_e32 v41, v29, v13
	v_fmamk_f32 v48, v36, 0x3f737871, v37
	v_add_f32_e32 v42, v46, v42
	v_fmac_f32_e32 v45, 0x3e9e377a, v43
	v_fmac_f32_e32 v37, 0xbf737871, v36
	;; [unrolled: 1-line block ×3, first 2 shown]
	v_add_f32_e32 v6, v13, v6
	v_sub_f32_e32 v13, v25, v32
	v_sub_f32_e32 v29, v23, v19
	v_mul_f32_e32 v17, 0x3f4f1bbd, v14
	v_fmac_f32_e32 v33, 0x3f167918, v4
	v_fmac_f32_e32 v28, 0xbf167918, v4
	v_add_f32_e32 v4, v23, v8
	v_add_f32_e32 v8, v22, v24
	v_fmac_f32_e32 v27, 0xbf167918, v15
	v_mul_f32_e32 v22, 0xbf167918, v14
	v_mul_f32_e32 v12, 0xbf4f1bbd, v26
	v_add_f32_e32 v39, v41, v39
	v_fmac_f32_e32 v48, 0xbf167918, v3
	v_fmac_f32_e32 v47, 0x3e9e377a, v42
	v_mul_f32_e32 v41, 0xbe9e377a, v45
	v_fmac_f32_e32 v37, 0x3f167918, v3
	v_fmac_f32_e32 v40, 0x3e9e377a, v42
	v_mul_f32_e32 v42, 0x3e9e377a, v38
	v_add_f32_e32 v13, v29, v13
	v_mul_f32_e32 v29, 0xbf737871, v45
	v_mul_f32_e32 v25, 0xbf737871, v38
	v_fmac_f32_e32 v20, 0x3f167918, v15
	v_mul_f32_e32 v26, 0xbf167918, v26
	v_fmac_f32_e32 v17, 0x3f167918, v11
	v_add_f32_e32 v10, v10, v0
	v_add_f32_e32 v14, v19, v4
	v_add_f32_e32 v23, v2, v8
	v_fmac_f32_e32 v27, 0x3e9e377a, v16
	v_fmac_f32_e32 v22, 0x3f4f1bbd, v11
	;; [unrolled: 1-line block ×13, first 2 shown]
	v_sub_f32_e32 v7, v18, v17
	v_add_f32_e32 v17, v18, v17
	v_add_f32_e32 v19, v6, v10
	;; [unrolled: 1-line block ×4, first 2 shown]
	v_sub_f32_e32 v1, v21, v12
	v_sub_f32_e32 v8, v14, v23
	v_add_f32_e32 v11, v21, v12
	v_add_f32_e32 v13, v48, v41
	;; [unrolled: 1-line block ×5, first 2 shown]
	v_sub_f32_e32 v9, v6, v10
	v_sub_f32_e32 v0, v20, v26
	v_add_f32_e32 v10, v20, v26
	v_add_nc_u32_e32 v20, 0x800, v59
	v_sub_f32_e32 v5, v37, v42
	v_sub_f32_e32 v4, v28, v25
	;; [unrolled: 1-line block ×5, first 2 shown]
	v_add_nc_u32_e32 v21, 0x1000, v59
	ds_write2_b64 v59, v[18:19], v[16:17] offset1:66
	ds_write2_b64 v59, v[14:15], v[12:13] offset0:132 offset1:198
	ds_write2_b64 v20, v[10:11], v[8:9] offset0:8 offset1:74
	;; [unrolled: 1-line block ×4, first 2 shown]
.LBB0_21:
	s_or_b32 exec_lo, exec_lo, s1
	s_waitcnt lgkmcnt(0)
	s_barrier
	buffer_gl0_inv
	s_and_b32 exec_lo, exec_lo, vcc_lo
	s_cbranch_execz .LBB0_23
; %bb.22:
	v_add_co_u32 v2, s0, s14, v59
	v_add_co_ci_u32_e64 v3, null, s15, 0, s0
	s_clause 0x4
	global_load_dwordx2 v[20:21], v59, s[14:15]
	global_load_dwordx2 v[22:23], v59, s[14:15] offset:480
	global_load_dwordx2 v[24:25], v59, s[14:15] offset:960
	;; [unrolled: 1-line block ×4, first 2 shown]
	v_add_co_u32 v0, vcc_lo, 0x800, v2
	v_add_co_ci_u32_e32 v1, vcc_lo, 0, v3, vcc_lo
	v_add_co_u32 v2, vcc_lo, 0x1000, v2
	v_add_co_ci_u32_e32 v3, vcc_lo, 0, v3, vcc_lo
	s_clause 0x5
	global_load_dwordx2 v[30:31], v[0:1], off offset:352
	global_load_dwordx2 v[32:33], v[0:1], off offset:832
	;; [unrolled: 1-line block ×6, first 2 shown]
	v_mad_u64_u32 v[4:5], null, s4, v60, 0
	v_mad_u64_u32 v[0:1], null, s6, v52, 0
	ds_read_b64 v[42:43], v59
	v_add_nc_u32_e32 v12, 0x800, v59
	v_add_nc_u32_e32 v16, 0x1000, v59
	s_mul_i32 s2, s5, 0x1e0
	v_mov_b32_e32 v2, v5
	s_mul_hi_u32 s3, s4, 0x1e0
	ds_read2_b64 v[8:11], v12 offset0:44 offset1:104
	ds_read2_b64 v[12:15], v12 offset0:164 offset1:224
	;; [unrolled: 1-line block ×3, first 2 shown]
	v_mad_u64_u32 v[5:6], null, s7, v52, v[1:2]
	v_mad_u64_u32 v[2:3], null, s5, v60, v[2:3]
	s_mulk_i32 s4, 0x1e0
	s_mov_b32 s0, 0x8d3018d3
	s_add_i32 s3, s3, s2
	s_mov_b32 s1, 0x3f58d301
	v_mov_b32_e32 v1, v5
	v_mov_b32_e32 v5, v2
	v_lshlrev_b64 v[6:7], 3, v[0:1]
	ds_read2_b64 v[0:3], v59 offset0:60 offset1:120
	v_lshlrev_b64 v[4:5], 3, v[4:5]
	v_add_co_u32 v6, vcc_lo, s12, v6
	v_add_co_ci_u32_e32 v7, vcc_lo, s13, v7, vcc_lo
	v_add_co_u32 v44, vcc_lo, v6, v4
	v_add_co_ci_u32_e32 v45, vcc_lo, v7, v5, vcc_lo
	ds_read2_b64 v[4:7], v59 offset0:180 offset1:240
	v_add_co_u32 v46, vcc_lo, v44, s4
	v_add_co_ci_u32_e32 v47, vcc_lo, s3, v45, vcc_lo
	v_add_co_u32 v48, vcc_lo, v46, s4
	v_add_co_ci_u32_e32 v49, vcc_lo, s3, v47, vcc_lo
	;; [unrolled: 2-line block ×7, first 2 shown]
	s_waitcnt vmcnt(10) lgkmcnt(5)
	v_mul_f32_e32 v60, v43, v21
	s_waitcnt vmcnt(9) lgkmcnt(1)
	v_mul_f32_e32 v61, v1, v23
	v_mul_f32_e32 v21, v42, v21
	;; [unrolled: 1-line block ×3, first 2 shown]
	s_waitcnt vmcnt(8)
	v_mul_f32_e32 v62, v3, v25
	s_waitcnt vmcnt(7) lgkmcnt(0)
	v_mul_f32_e32 v63, v5, v27
	s_waitcnt vmcnt(6)
	v_mul_f32_e32 v64, v7, v29
	v_fmac_f32_e32 v60, v42, v20
	v_mul_f32_e32 v27, v4, v27
	v_fmac_f32_e32 v61, v0, v22
	v_mul_f32_e32 v25, v2, v25
	v_mul_f32_e32 v29, v6, v29
	v_fma_f32 v20, v20, v43, -v21
	v_fma_f32 v21, v22, v1, -v23
	v_fmac_f32_e32 v62, v2, v24
	v_fmac_f32_e32 v63, v4, v26
	;; [unrolled: 1-line block ×3, first 2 shown]
	v_cvt_f64_f32_e32 v[0:1], v60
	s_waitcnt vmcnt(5)
	v_mul_f32_e32 v60, v9, v31
	v_mul_f32_e32 v31, v8, v31
	v_fma_f32 v26, v26, v5, -v27
	v_cvt_f64_f32_e32 v[4:5], v61
	s_waitcnt vmcnt(4)
	v_mul_f32_e32 v61, v11, v33
	v_mul_f32_e32 v33, v10, v33
	v_fma_f32 v22, v24, v3, -v25
	v_fma_f32 v42, v28, v7, -v29
	v_cvt_f64_f32_e32 v[2:3], v20
	v_cvt_f64_f32_e32 v[6:7], v21
	;; [unrolled: 1-line block ×3, first 2 shown]
	s_waitcnt vmcnt(3)
	v_mul_f32_e32 v62, v13, v35
	v_mul_f32_e32 v35, v12, v35
	v_cvt_f64_f32_e32 v[24:25], v63
	s_waitcnt vmcnt(2)
	v_mul_f32_e32 v63, v15, v37
	v_mul_f32_e32 v37, v14, v37
	v_cvt_f64_f32_e32 v[28:29], v64
	s_waitcnt vmcnt(1)
	v_mul_f32_e32 v64, v17, v39
	v_mul_f32_e32 v39, v16, v39
	s_waitcnt vmcnt(0)
	v_mul_f32_e32 v65, v19, v41
	v_mul_f32_e32 v41, v18, v41
	v_fmac_f32_e32 v60, v8, v30
	v_fma_f32 v30, v30, v9, -v31
	v_fmac_f32_e32 v61, v10, v32
	v_fma_f32 v31, v32, v11, -v33
	v_cvt_f64_f32_e32 v[22:23], v22
	v_fmac_f32_e32 v62, v12, v34
	v_fma_f32 v32, v34, v13, -v35
	v_cvt_f64_f32_e32 v[26:27], v26
	;; [unrolled: 3-line block ×3, first 2 shown]
	v_fmac_f32_e32 v64, v16, v38
	v_fma_f32 v36, v38, v17, -v39
	v_fmac_f32_e32 v65, v18, v40
	v_fma_f32 v40, v40, v19, -v41
	v_cvt_f64_f32_e32 v[8:9], v60
	v_cvt_f64_f32_e32 v[10:11], v30
	;; [unrolled: 1-line block ×12, first 2 shown]
	v_mul_f64 v[0:1], v[0:1], s[0:1]
	v_mul_f64 v[2:3], v[2:3], s[0:1]
	;; [unrolled: 1-line block ×22, first 2 shown]
	v_cvt_f32_f64_e32 v0, v[0:1]
	v_cvt_f32_f64_e32 v1, v[2:3]
	v_cvt_f32_f64_e32 v2, v[4:5]
	v_cvt_f32_f64_e32 v3, v[6:7]
	v_cvt_f32_f64_e32 v4, v[20:21]
	v_cvt_f32_f64_e32 v5, v[22:23]
	v_cvt_f32_f64_e32 v6, v[24:25]
	v_cvt_f32_f64_e32 v7, v[26:27]
	v_cvt_f32_f64_e32 v20, v[28:29]
	v_cvt_f32_f64_e32 v21, v[42:43]
	v_cvt_f32_f64_e32 v8, v[8:9]
	v_cvt_f32_f64_e32 v9, v[10:11]
	v_cvt_f32_f64_e32 v10, v[12:13]
	v_cvt_f32_f64_e32 v11, v[14:15]
	v_cvt_f32_f64_e32 v12, v[16:17]
	v_cvt_f32_f64_e32 v13, v[18:19]
	v_cvt_f32_f64_e32 v14, v[30:31]
	v_cvt_f32_f64_e32 v15, v[32:33]
	v_cvt_f32_f64_e32 v16, v[34:35]
	v_cvt_f32_f64_e32 v17, v[36:37]
	v_cvt_f32_f64_e32 v18, v[38:39]
	v_cvt_f32_f64_e32 v19, v[40:41]
	v_add_co_u32 v22, vcc_lo, v58, s4
	v_add_co_ci_u32_e32 v23, vcc_lo, s3, v59, vcc_lo
	v_add_co_u32 v24, vcc_lo, v22, s4
	v_add_co_ci_u32_e32 v25, vcc_lo, s3, v23, vcc_lo
	;; [unrolled: 2-line block ×3, first 2 shown]
	global_store_dwordx2 v[44:45], v[0:1], off
	global_store_dwordx2 v[46:47], v[2:3], off
	;; [unrolled: 1-line block ×11, first 2 shown]
.LBB0_23:
	s_endpgm
	.section	.rodata,"a",@progbits
	.p2align	6, 0x0
	.amdhsa_kernel bluestein_single_back_len660_dim1_sp_op_CI_CI
		.amdhsa_group_segment_fixed_size 5280
		.amdhsa_private_segment_fixed_size 0
		.amdhsa_kernarg_size 104
		.amdhsa_user_sgpr_count 6
		.amdhsa_user_sgpr_private_segment_buffer 1
		.amdhsa_user_sgpr_dispatch_ptr 0
		.amdhsa_user_sgpr_queue_ptr 0
		.amdhsa_user_sgpr_kernarg_segment_ptr 1
		.amdhsa_user_sgpr_dispatch_id 0
		.amdhsa_user_sgpr_flat_scratch_init 0
		.amdhsa_user_sgpr_private_segment_size 0
		.amdhsa_wavefront_size32 1
		.amdhsa_uses_dynamic_stack 0
		.amdhsa_system_sgpr_private_segment_wavefront_offset 0
		.amdhsa_system_sgpr_workgroup_id_x 1
		.amdhsa_system_sgpr_workgroup_id_y 0
		.amdhsa_system_sgpr_workgroup_id_z 0
		.amdhsa_system_sgpr_workgroup_info 0
		.amdhsa_system_vgpr_workitem_id 0
		.amdhsa_next_free_vgpr 158
		.amdhsa_next_free_sgpr 16
		.amdhsa_reserve_vcc 1
		.amdhsa_reserve_flat_scratch 0
		.amdhsa_float_round_mode_32 0
		.amdhsa_float_round_mode_16_64 0
		.amdhsa_float_denorm_mode_32 3
		.amdhsa_float_denorm_mode_16_64 3
		.amdhsa_dx10_clamp 1
		.amdhsa_ieee_mode 1
		.amdhsa_fp16_overflow 0
		.amdhsa_workgroup_processor_mode 1
		.amdhsa_memory_ordered 1
		.amdhsa_forward_progress 0
		.amdhsa_shared_vgpr_count 0
		.amdhsa_exception_fp_ieee_invalid_op 0
		.amdhsa_exception_fp_denorm_src 0
		.amdhsa_exception_fp_ieee_div_zero 0
		.amdhsa_exception_fp_ieee_overflow 0
		.amdhsa_exception_fp_ieee_underflow 0
		.amdhsa_exception_fp_ieee_inexact 0
		.amdhsa_exception_int_div_zero 0
	.end_amdhsa_kernel
	.text
.Lfunc_end0:
	.size	bluestein_single_back_len660_dim1_sp_op_CI_CI, .Lfunc_end0-bluestein_single_back_len660_dim1_sp_op_CI_CI
                                        ; -- End function
	.section	.AMDGPU.csdata,"",@progbits
; Kernel info:
; codeLenInByte = 10888
; NumSgprs: 18
; NumVgprs: 158
; ScratchSize: 0
; MemoryBound: 0
; FloatMode: 240
; IeeeMode: 1
; LDSByteSize: 5280 bytes/workgroup (compile time only)
; SGPRBlocks: 2
; VGPRBlocks: 19
; NumSGPRsForWavesPerEU: 18
; NumVGPRsForWavesPerEU: 158
; Occupancy: 6
; WaveLimiterHint : 1
; COMPUTE_PGM_RSRC2:SCRATCH_EN: 0
; COMPUTE_PGM_RSRC2:USER_SGPR: 6
; COMPUTE_PGM_RSRC2:TRAP_HANDLER: 0
; COMPUTE_PGM_RSRC2:TGID_X_EN: 1
; COMPUTE_PGM_RSRC2:TGID_Y_EN: 0
; COMPUTE_PGM_RSRC2:TGID_Z_EN: 0
; COMPUTE_PGM_RSRC2:TIDIG_COMP_CNT: 0
	.text
	.p2alignl 6, 3214868480
	.fill 48, 4, 3214868480
	.type	__hip_cuid_dc42287561211835,@object ; @__hip_cuid_dc42287561211835
	.section	.bss,"aw",@nobits
	.globl	__hip_cuid_dc42287561211835
__hip_cuid_dc42287561211835:
	.byte	0                               ; 0x0
	.size	__hip_cuid_dc42287561211835, 1

	.ident	"AMD clang version 19.0.0git (https://github.com/RadeonOpenCompute/llvm-project roc-6.4.0 25133 c7fe45cf4b819c5991fe208aaa96edf142730f1d)"
	.section	".note.GNU-stack","",@progbits
	.addrsig
	.addrsig_sym __hip_cuid_dc42287561211835
	.amdgpu_metadata
---
amdhsa.kernels:
  - .args:
      - .actual_access:  read_only
        .address_space:  global
        .offset:         0
        .size:           8
        .value_kind:     global_buffer
      - .actual_access:  read_only
        .address_space:  global
        .offset:         8
        .size:           8
        .value_kind:     global_buffer
      - .actual_access:  read_only
        .address_space:  global
        .offset:         16
        .size:           8
        .value_kind:     global_buffer
      - .actual_access:  read_only
        .address_space:  global
        .offset:         24
        .size:           8
        .value_kind:     global_buffer
      - .actual_access:  read_only
        .address_space:  global
        .offset:         32
        .size:           8
        .value_kind:     global_buffer
      - .offset:         40
        .size:           8
        .value_kind:     by_value
      - .address_space:  global
        .offset:         48
        .size:           8
        .value_kind:     global_buffer
      - .address_space:  global
        .offset:         56
        .size:           8
        .value_kind:     global_buffer
      - .address_space:  global
        .offset:         64
        .size:           8
        .value_kind:     global_buffer
      - .address_space:  global
        .offset:         72
        .size:           8
        .value_kind:     global_buffer
      - .offset:         80
        .size:           4
        .value_kind:     by_value
      - .address_space:  global
        .offset:         88
        .size:           8
        .value_kind:     global_buffer
      - .address_space:  global
        .offset:         96
        .size:           8
        .value_kind:     global_buffer
    .group_segment_fixed_size: 5280
    .kernarg_segment_align: 8
    .kernarg_segment_size: 104
    .language:       OpenCL C
    .language_version:
      - 2
      - 0
    .max_flat_workgroup_size: 110
    .name:           bluestein_single_back_len660_dim1_sp_op_CI_CI
    .private_segment_fixed_size: 0
    .sgpr_count:     18
    .sgpr_spill_count: 0
    .symbol:         bluestein_single_back_len660_dim1_sp_op_CI_CI.kd
    .uniform_work_group_size: 1
    .uses_dynamic_stack: false
    .vgpr_count:     158
    .vgpr_spill_count: 0
    .wavefront_size: 32
    .workgroup_processor_mode: 1
amdhsa.target:   amdgcn-amd-amdhsa--gfx1030
amdhsa.version:
  - 1
  - 2
...

	.end_amdgpu_metadata
